;; amdgpu-corpus repo=ROCm/rocFFT kind=compiled arch=gfx1030 opt=O3
	.text
	.amdgcn_target "amdgcn-amd-amdhsa--gfx1030"
	.amdhsa_code_object_version 6
	.protected	fft_rtc_back_len1800_factors_10_6_10_3_wgs_180_tpt_180_halfLds_half_op_CI_CI_unitstride_sbrr_C2R_dirReg ; -- Begin function fft_rtc_back_len1800_factors_10_6_10_3_wgs_180_tpt_180_halfLds_half_op_CI_CI_unitstride_sbrr_C2R_dirReg
	.globl	fft_rtc_back_len1800_factors_10_6_10_3_wgs_180_tpt_180_halfLds_half_op_CI_CI_unitstride_sbrr_C2R_dirReg
	.p2align	8
	.type	fft_rtc_back_len1800_factors_10_6_10_3_wgs_180_tpt_180_halfLds_half_op_CI_CI_unitstride_sbrr_C2R_dirReg,@function
fft_rtc_back_len1800_factors_10_6_10_3_wgs_180_tpt_180_halfLds_half_op_CI_CI_unitstride_sbrr_C2R_dirReg: ; @fft_rtc_back_len1800_factors_10_6_10_3_wgs_180_tpt_180_halfLds_half_op_CI_CI_unitstride_sbrr_C2R_dirReg
; %bb.0:
	s_clause 0x2
	s_load_dwordx4 s[12:15], s[4:5], 0x0
	s_load_dwordx4 s[8:11], s[4:5], 0x58
	;; [unrolled: 1-line block ×3, first 2 shown]
	v_mul_u32_u24_e32 v1, 0x16d, v0
	v_mov_b32_e32 v8, 0
	v_mov_b32_e32 v6, 0
	;; [unrolled: 1-line block ×3, first 2 shown]
	v_add_nc_u32_sdwa v10, s6, v1 dst_sel:DWORD dst_unused:UNUSED_PAD src0_sel:DWORD src1_sel:WORD_1
	v_mov_b32_e32 v11, v8
	s_waitcnt lgkmcnt(0)
	v_cmp_lt_u64_e64 s0, s[14:15], 2
	s_and_b32 vcc_lo, exec_lo, s0
	s_cbranch_vccnz .LBB0_8
; %bb.1:
	s_load_dwordx2 s[0:1], s[4:5], 0x10
	v_mov_b32_e32 v6, 0
	v_mov_b32_e32 v7, 0
	s_add_u32 s2, s18, 8
	s_addc_u32 s3, s19, 0
	v_mov_b32_e32 v1, v6
	s_add_u32 s6, s16, 8
	v_mov_b32_e32 v2, v7
	s_addc_u32 s7, s17, 0
	s_mov_b64 s[22:23], 1
	s_waitcnt lgkmcnt(0)
	s_add_u32 s20, s0, 8
	s_addc_u32 s21, s1, 0
.LBB0_2:                                ; =>This Inner Loop Header: Depth=1
	s_load_dwordx2 s[24:25], s[20:21], 0x0
                                        ; implicit-def: $vgpr3_vgpr4
	s_mov_b32 s0, exec_lo
	s_waitcnt lgkmcnt(0)
	v_or_b32_e32 v9, s25, v11
	v_cmpx_ne_u64_e32 0, v[8:9]
	s_xor_b32 s1, exec_lo, s0
	s_cbranch_execz .LBB0_4
; %bb.3:                                ;   in Loop: Header=BB0_2 Depth=1
	v_cvt_f32_u32_e32 v3, s24
	v_cvt_f32_u32_e32 v4, s25
	s_sub_u32 s0, 0, s24
	s_subb_u32 s26, 0, s25
	v_fmac_f32_e32 v3, 0x4f800000, v4
	v_rcp_f32_e32 v3, v3
	v_mul_f32_e32 v3, 0x5f7ffffc, v3
	v_mul_f32_e32 v4, 0x2f800000, v3
	v_trunc_f32_e32 v4, v4
	v_fmac_f32_e32 v3, 0xcf800000, v4
	v_cvt_u32_f32_e32 v4, v4
	v_cvt_u32_f32_e32 v3, v3
	v_mul_lo_u32 v5, s0, v4
	v_mul_hi_u32 v9, s0, v3
	v_mul_lo_u32 v12, s26, v3
	v_add_nc_u32_e32 v5, v9, v5
	v_mul_lo_u32 v9, s0, v3
	v_add_nc_u32_e32 v5, v5, v12
	v_mul_hi_u32 v12, v3, v9
	v_mul_lo_u32 v13, v3, v5
	v_mul_hi_u32 v14, v3, v5
	v_mul_hi_u32 v15, v4, v9
	v_mul_lo_u32 v9, v4, v9
	v_mul_hi_u32 v16, v4, v5
	v_mul_lo_u32 v5, v4, v5
	v_add_co_u32 v12, vcc_lo, v12, v13
	v_add_co_ci_u32_e32 v13, vcc_lo, 0, v14, vcc_lo
	v_add_co_u32 v9, vcc_lo, v12, v9
	v_add_co_ci_u32_e32 v9, vcc_lo, v13, v15, vcc_lo
	v_add_co_ci_u32_e32 v12, vcc_lo, 0, v16, vcc_lo
	v_add_co_u32 v5, vcc_lo, v9, v5
	v_add_co_ci_u32_e32 v9, vcc_lo, 0, v12, vcc_lo
	v_add_co_u32 v3, vcc_lo, v3, v5
	v_add_co_ci_u32_e32 v4, vcc_lo, v4, v9, vcc_lo
	v_mul_hi_u32 v5, s0, v3
	v_mul_lo_u32 v12, s26, v3
	v_mul_lo_u32 v9, s0, v4
	v_add_nc_u32_e32 v5, v5, v9
	v_mul_lo_u32 v9, s0, v3
	v_add_nc_u32_e32 v5, v5, v12
	v_mul_hi_u32 v12, v3, v9
	v_mul_lo_u32 v13, v3, v5
	v_mul_hi_u32 v14, v3, v5
	v_mul_hi_u32 v15, v4, v9
	v_mul_lo_u32 v9, v4, v9
	v_mul_hi_u32 v16, v4, v5
	v_mul_lo_u32 v5, v4, v5
	v_add_co_u32 v12, vcc_lo, v12, v13
	v_add_co_ci_u32_e32 v13, vcc_lo, 0, v14, vcc_lo
	v_add_co_u32 v9, vcc_lo, v12, v9
	v_add_co_ci_u32_e32 v9, vcc_lo, v13, v15, vcc_lo
	v_add_co_ci_u32_e32 v12, vcc_lo, 0, v16, vcc_lo
	v_add_co_u32 v5, vcc_lo, v9, v5
	v_add_co_ci_u32_e32 v9, vcc_lo, 0, v12, vcc_lo
	v_add_co_u32 v5, vcc_lo, v3, v5
	v_add_co_ci_u32_e32 v9, vcc_lo, v4, v9, vcc_lo
	v_mul_hi_u32 v16, v10, v5
	v_mad_u64_u32 v[12:13], null, v11, v5, 0
	v_mad_u64_u32 v[3:4], null, v10, v9, 0
	;; [unrolled: 1-line block ×3, first 2 shown]
	v_add_co_u32 v3, vcc_lo, v16, v3
	v_add_co_ci_u32_e32 v4, vcc_lo, 0, v4, vcc_lo
	v_add_co_u32 v3, vcc_lo, v3, v12
	v_add_co_ci_u32_e32 v3, vcc_lo, v4, v13, vcc_lo
	v_add_co_ci_u32_e32 v4, vcc_lo, 0, v15, vcc_lo
	v_add_co_u32 v5, vcc_lo, v3, v14
	v_add_co_ci_u32_e32 v9, vcc_lo, 0, v4, vcc_lo
	v_mul_lo_u32 v12, s25, v5
	v_mad_u64_u32 v[3:4], null, s24, v5, 0
	v_mul_lo_u32 v13, s24, v9
	v_sub_co_u32 v3, vcc_lo, v10, v3
	v_add3_u32 v4, v4, v13, v12
	v_sub_nc_u32_e32 v12, v11, v4
	v_subrev_co_ci_u32_e64 v12, s0, s25, v12, vcc_lo
	v_add_co_u32 v13, s0, v5, 2
	v_add_co_ci_u32_e64 v14, s0, 0, v9, s0
	v_sub_co_u32 v15, s0, v3, s24
	v_sub_co_ci_u32_e32 v4, vcc_lo, v11, v4, vcc_lo
	v_subrev_co_ci_u32_e64 v12, s0, 0, v12, s0
	v_cmp_le_u32_e32 vcc_lo, s24, v15
	v_cmp_eq_u32_e64 s0, s25, v4
	v_cndmask_b32_e64 v15, 0, -1, vcc_lo
	v_cmp_le_u32_e32 vcc_lo, s25, v12
	v_cndmask_b32_e64 v16, 0, -1, vcc_lo
	v_cmp_le_u32_e32 vcc_lo, s24, v3
	;; [unrolled: 2-line block ×3, first 2 shown]
	v_cndmask_b32_e64 v17, 0, -1, vcc_lo
	v_cmp_eq_u32_e32 vcc_lo, s25, v12
	v_cndmask_b32_e64 v3, v17, v3, s0
	v_cndmask_b32_e32 v12, v16, v15, vcc_lo
	v_add_co_u32 v15, vcc_lo, v5, 1
	v_add_co_ci_u32_e32 v16, vcc_lo, 0, v9, vcc_lo
	v_cmp_ne_u32_e32 vcc_lo, 0, v12
	v_cndmask_b32_e32 v4, v16, v14, vcc_lo
	v_cndmask_b32_e32 v12, v15, v13, vcc_lo
	v_cmp_ne_u32_e32 vcc_lo, 0, v3
	v_cndmask_b32_e32 v4, v9, v4, vcc_lo
	v_cndmask_b32_e32 v3, v5, v12, vcc_lo
.LBB0_4:                                ;   in Loop: Header=BB0_2 Depth=1
	s_andn2_saveexec_b32 s0, s1
	s_cbranch_execz .LBB0_6
; %bb.5:                                ;   in Loop: Header=BB0_2 Depth=1
	v_cvt_f32_u32_e32 v3, s24
	s_sub_i32 s1, 0, s24
	v_rcp_iflag_f32_e32 v3, v3
	v_mul_f32_e32 v3, 0x4f7ffffe, v3
	v_cvt_u32_f32_e32 v3, v3
	v_mul_lo_u32 v4, s1, v3
	v_mul_hi_u32 v4, v3, v4
	v_add_nc_u32_e32 v3, v3, v4
	v_mul_hi_u32 v3, v10, v3
	v_mul_lo_u32 v4, v3, s24
	v_add_nc_u32_e32 v5, 1, v3
	v_sub_nc_u32_e32 v4, v10, v4
	v_subrev_nc_u32_e32 v9, s24, v4
	v_cmp_le_u32_e32 vcc_lo, s24, v4
	v_cndmask_b32_e32 v4, v4, v9, vcc_lo
	v_cndmask_b32_e32 v3, v3, v5, vcc_lo
	v_cmp_le_u32_e32 vcc_lo, s24, v4
	v_add_nc_u32_e32 v5, 1, v3
	v_mov_b32_e32 v4, v8
	v_cndmask_b32_e32 v3, v3, v5, vcc_lo
.LBB0_6:                                ;   in Loop: Header=BB0_2 Depth=1
	s_or_b32 exec_lo, exec_lo, s0
	v_mul_lo_u32 v5, v4, s24
	v_mul_lo_u32 v9, v3, s25
	s_load_dwordx2 s[0:1], s[6:7], 0x0
	v_mad_u64_u32 v[12:13], null, v3, s24, 0
	s_load_dwordx2 s[24:25], s[2:3], 0x0
	s_add_u32 s22, s22, 1
	s_addc_u32 s23, s23, 0
	s_add_u32 s2, s2, 8
	s_addc_u32 s3, s3, 0
	s_add_u32 s6, s6, 8
	v_add3_u32 v5, v13, v9, v5
	v_sub_co_u32 v9, vcc_lo, v10, v12
	s_addc_u32 s7, s7, 0
	s_add_u32 s20, s20, 8
	v_sub_co_ci_u32_e32 v5, vcc_lo, v11, v5, vcc_lo
	s_addc_u32 s21, s21, 0
	s_waitcnt lgkmcnt(0)
	v_mul_lo_u32 v10, s0, v5
	v_mul_lo_u32 v11, s1, v9
	v_mad_u64_u32 v[6:7], null, s0, v9, v[6:7]
	v_mul_lo_u32 v5, s24, v5
	v_mul_lo_u32 v12, s25, v9
	v_mad_u64_u32 v[1:2], null, s24, v9, v[1:2]
	v_cmp_ge_u64_e64 s0, s[22:23], s[14:15]
	v_add3_u32 v7, v11, v7, v10
	v_add3_u32 v2, v12, v2, v5
	s_and_b32 vcc_lo, exec_lo, s0
	s_cbranch_vccnz .LBB0_9
; %bb.7:                                ;   in Loop: Header=BB0_2 Depth=1
	v_mov_b32_e32 v11, v4
	v_mov_b32_e32 v10, v3
	s_branch .LBB0_2
.LBB0_8:
	v_mov_b32_e32 v1, v6
	v_mov_b32_e32 v3, v10
	;; [unrolled: 1-line block ×4, first 2 shown]
.LBB0_9:
	s_load_dwordx2 s[0:1], s[4:5], 0x28
	v_mul_hi_u32 v8, 0x16c16c2, v0
	s_lshl_b64 s[4:5], s[14:15], 3
                                        ; implicit-def: $vgpr5
	s_add_u32 s2, s18, s4
	s_addc_u32 s3, s19, s5
	s_waitcnt lgkmcnt(0)
	v_cmp_gt_u64_e32 vcc_lo, s[0:1], v[3:4]
	v_cmp_le_u64_e64 s0, s[0:1], v[3:4]
	s_and_saveexec_b32 s1, s0
	s_xor_b32 s0, exec_lo, s1
; %bb.10:
	v_mul_u32_u24_e32 v5, 0xb4, v8
                                        ; implicit-def: $vgpr8
                                        ; implicit-def: $vgpr6_vgpr7
	v_sub_nc_u32_e32 v5, v0, v5
                                        ; implicit-def: $vgpr0
; %bb.11:
	s_or_saveexec_b32 s1, s0
	s_load_dwordx2 s[2:3], s[2:3], 0x0
	s_xor_b32 exec_lo, exec_lo, s1
	s_cbranch_execz .LBB0_15
; %bb.12:
	s_add_u32 s4, s16, s4
	s_addc_u32 s5, s17, s5
	v_lshlrev_b64 v[6:7], 2, v[6:7]
	s_load_dwordx2 s[4:5], s[4:5], 0x0
	s_waitcnt lgkmcnt(0)
	v_mul_lo_u32 v5, s5, v3
	v_mul_lo_u32 v11, s4, v4
	v_mad_u64_u32 v[9:10], null, s4, v3, 0
	s_mov_b32 s4, exec_lo
	v_add3_u32 v10, v10, v11, v5
	v_mul_u32_u24_e32 v5, 0xb4, v8
	v_lshlrev_b64 v[8:9], 2, v[9:10]
	v_sub_nc_u32_e32 v5, v0, v5
	v_lshlrev_b32_e32 v15, 2, v5
	v_add_co_u32 v0, s0, s8, v8
	v_add_co_ci_u32_e64 v8, s0, s9, v9, s0
	v_add_co_u32 v0, s0, v0, v6
	v_add_co_ci_u32_e64 v6, s0, v8, v7, s0
	;; [unrolled: 2-line block ×6, first 2 shown]
	s_clause 0x9
	global_load_dword v16, v[7:8], off
	global_load_dword v17, v[7:8], off offset:720
	global_load_dword v7, v[7:8], off offset:1440
	;; [unrolled: 1-line block ×9, first 2 shown]
	v_add_nc_u32_e32 v13, 0, v15
	v_add_nc_u32_e32 v14, 0x500, v13
	;; [unrolled: 1-line block ×5, first 2 shown]
	s_waitcnt vmcnt(8)
	ds_write2_b32 v13, v16, v17 offset1:180
	s_waitcnt vmcnt(6)
	ds_write2_b32 v14, v7, v8 offset0:40 offset1:220
	s_waitcnt vmcnt(4)
	ds_write2_b32 v15, v18, v9 offset0:16 offset1:196
	;; [unrolled: 2-line block ×4, first 2 shown]
	v_cmpx_eq_u32_e32 0xb3, v5
	s_cbranch_execz .LBB0_14
; %bb.13:
	v_add_co_u32 v5, s0, 0x1800, v0
	v_add_co_ci_u32_e64 v6, s0, 0, v6, s0
	global_load_dword v0, v[5:6], off offset:1056
	v_mov_b32_e32 v6, 0
	v_mov_b32_e32 v5, 0xb3
	s_waitcnt vmcnt(0)
	ds_write_b32 v6, v0 offset:7200
.LBB0_14:
	s_or_b32 exec_lo, exec_lo, s4
.LBB0_15:
	s_or_b32 exec_lo, exec_lo, s1
	v_lshlrev_b32_e32 v6, 2, v5
	s_waitcnt lgkmcnt(0)
	s_barrier
	buffer_gl0_inv
	s_add_u32 s1, s12, 0x1bf8
	v_add_nc_u32_e32 v0, 0, v6
	v_sub_nc_u32_e32 v8, 0, v6
	s_addc_u32 s4, s13, 0
	s_mov_b32 s5, exec_lo
                                        ; implicit-def: $vgpr6_vgpr7
	ds_read_u16 v11, v0
	ds_read_u16 v12, v8 offset:7200
	s_waitcnt lgkmcnt(0)
	v_add_f16_e32 v10, v12, v11
	v_sub_f16_e32 v9, v11, v12
	v_cmpx_ne_u32_e32 0, v5
	s_xor_b32 s5, exec_lo, s5
	s_cbranch_execz .LBB0_17
; %bb.16:
	v_mov_b32_e32 v6, 0
	v_add_f16_e32 v13, v12, v11
	v_sub_f16_e32 v11, v11, v12
	v_lshlrev_b64 v[9:10], 2, v[5:6]
	v_add_co_u32 v9, s0, s1, v9
	v_add_co_ci_u32_e64 v10, s0, s4, v10, s0
	global_load_dword v7, v[9:10], off
	ds_read_u16 v9, v8 offset:7202
	ds_read_u16 v10, v0 offset:2
	s_waitcnt lgkmcnt(0)
	v_add_f16_e32 v12, v9, v10
	v_sub_f16_e32 v9, v10, v9
	s_waitcnt vmcnt(0)
	v_lshrrev_b32_e32 v14, 16, v7
	v_fma_f16 v15, -v11, v14, v13
	v_fma_f16 v16, v12, v14, -v9
	v_fma_f16 v9, v12, v14, v9
	v_fma_f16 v10, v11, v14, v13
	v_fmac_f16_e32 v15, v7, v12
	v_fmac_f16_e32 v16, v11, v7
	;; [unrolled: 1-line block ×3, first 2 shown]
	v_fma_f16 v10, -v7, v12, v10
	v_mov_b32_e32 v7, v6
	v_mov_b32_e32 v6, v5
	v_pack_b32_f16 v11, v15, v16
	ds_write_b32 v8, v11 offset:7200
.LBB0_17:
	s_andn2_saveexec_b32 s0, s5
	s_cbranch_execz .LBB0_19
; %bb.18:
	v_mov_b32_e32 v11, 0
	ds_read_b32 v6, v11 offset:3600
	s_waitcnt lgkmcnt(0)
	v_pk_mul_f16 v12, 0xc0004000, v6
	v_mov_b32_e32 v6, 0
	v_mov_b32_e32 v7, 0
	ds_write_b32 v11, v12 offset:3600
.LBB0_19:
	s_or_b32 exec_lo, exec_lo, s0
	v_lshlrev_b64 v[6:7], 2, v[6:7]
	v_add_co_u32 v6, s0, s1, v6
	v_add_co_ci_u32_e64 v7, s0, s4, v7, s0
	s_clause 0x1
	global_load_dword v11, v[6:7], off offset:720
	global_load_dword v12, v[6:7], off offset:1440
	v_add_co_u32 v6, s0, 0x800, v6
	v_add_co_ci_u32_e64 v7, s0, 0, v7, s0
	v_cmp_gt_u32_e64 s0, 0x78, v5
	s_clause 0x1
	global_load_dword v13, v[6:7], off offset:112
	global_load_dword v6, v[6:7], off offset:832
	v_perm_b32 v7, v9, v10, 0x5040100
	ds_write_b32 v0, v7
	ds_read_b32 v7, v0 offset:720
	ds_read_b32 v9, v8 offset:6480
	s_waitcnt lgkmcnt(0)
	v_add_f16_e32 v10, v7, v9
	v_add_f16_sdwa v14, v9, v7 dst_sel:DWORD dst_unused:UNUSED_PAD src0_sel:WORD_1 src1_sel:WORD_1
	v_sub_f16_e32 v15, v7, v9
	v_sub_f16_sdwa v7, v7, v9 dst_sel:DWORD dst_unused:UNUSED_PAD src0_sel:WORD_1 src1_sel:WORD_1
	s_waitcnt vmcnt(3)
	v_lshrrev_b32_e32 v16, 16, v11
	v_fma_f16 v9, v15, v16, v10
	v_fma_f16 v17, v14, v16, v7
	v_fma_f16 v10, -v15, v16, v10
	v_fma_f16 v7, v14, v16, -v7
	v_fma_f16 v9, -v11, v14, v9
	v_fmac_f16_e32 v17, v15, v11
	v_fmac_f16_e32 v10, v11, v14
	;; [unrolled: 1-line block ×3, first 2 shown]
	v_pack_b32_f16 v9, v9, v17
	v_pack_b32_f16 v7, v10, v7
	s_waitcnt vmcnt(2)
	v_lshrrev_b32_e32 v10, 16, v12
	ds_write_b32 v0, v9 offset:720
	ds_write_b32 v8, v7 offset:6480
	ds_read_b32 v7, v0 offset:1440
	ds_read_b32 v9, v8 offset:5760
	s_waitcnt lgkmcnt(0)
	v_add_f16_e32 v11, v7, v9
	v_add_f16_sdwa v14, v9, v7 dst_sel:DWORD dst_unused:UNUSED_PAD src0_sel:WORD_1 src1_sel:WORD_1
	v_sub_f16_e32 v15, v7, v9
	v_sub_f16_sdwa v7, v7, v9 dst_sel:DWORD dst_unused:UNUSED_PAD src0_sel:WORD_1 src1_sel:WORD_1
	v_fma_f16 v9, v15, v10, v11
	v_fma_f16 v16, v14, v10, v7
	v_fma_f16 v11, -v15, v10, v11
	v_fma_f16 v7, v14, v10, -v7
	s_waitcnt vmcnt(1)
	v_lshrrev_b32_e32 v10, 16, v13
	v_fma_f16 v9, -v12, v14, v9
	v_fmac_f16_e32 v16, v15, v12
	v_fmac_f16_e32 v11, v12, v14
	;; [unrolled: 1-line block ×3, first 2 shown]
	v_pack_b32_f16 v9, v9, v16
	v_mad_u32_u24 v16, v5, 36, v0
	v_pack_b32_f16 v7, v11, v7
	ds_write_b32 v0, v9 offset:1440
	ds_write_b32 v8, v7 offset:5760
	ds_read_b32 v7, v0 offset:2160
	ds_read_b32 v9, v8 offset:5040
	s_waitcnt lgkmcnt(0)
	v_add_f16_e32 v11, v7, v9
	v_add_f16_sdwa v12, v9, v7 dst_sel:DWORD dst_unused:UNUSED_PAD src0_sel:WORD_1 src1_sel:WORD_1
	v_sub_f16_e32 v14, v7, v9
	v_sub_f16_sdwa v7, v7, v9 dst_sel:DWORD dst_unused:UNUSED_PAD src0_sel:WORD_1 src1_sel:WORD_1
	v_fma_f16 v9, v14, v10, v11
	v_fma_f16 v15, v12, v10, v7
	v_fma_f16 v11, -v14, v10, v11
	v_fma_f16 v7, v12, v10, -v7
	s_waitcnt vmcnt(0)
	v_lshrrev_b32_e32 v10, 16, v6
	v_fma_f16 v9, -v13, v12, v9
	v_fmac_f16_e32 v15, v14, v13
	v_fmac_f16_e32 v11, v13, v12
	;; [unrolled: 1-line block ×3, first 2 shown]
	v_pack_b32_f16 v9, v9, v15
	v_pack_b32_f16 v7, v11, v7
	ds_write_b32 v0, v9 offset:2160
	ds_write_b32 v8, v7 offset:5040
	ds_read_b32 v7, v0 offset:2880
	ds_read_b32 v9, v8 offset:4320
	s_waitcnt lgkmcnt(0)
	v_add_f16_e32 v11, v7, v9
	v_add_f16_sdwa v12, v9, v7 dst_sel:DWORD dst_unused:UNUSED_PAD src0_sel:WORD_1 src1_sel:WORD_1
	v_sub_f16_e32 v13, v7, v9
	v_sub_f16_sdwa v7, v7, v9 dst_sel:DWORD dst_unused:UNUSED_PAD src0_sel:WORD_1 src1_sel:WORD_1
	v_fma_f16 v9, v13, v10, v11
	v_fma_f16 v14, v12, v10, v7
	v_fma_f16 v11, -v13, v10, v11
	v_fma_f16 v7, v12, v10, -v7
	v_add_nc_u32_e32 v10, 0xb00, v0
	v_fma_f16 v9, -v6, v12, v9
	v_fmac_f16_e32 v14, v13, v6
	v_fmac_f16_e32 v11, v6, v12
	;; [unrolled: 1-line block ×3, first 2 shown]
	v_add_nc_u32_e32 v6, 0x500, v0
	v_add_nc_u32_e32 v12, 0x1600, v0
	v_pack_b32_f16 v9, v9, v14
	v_pack_b32_f16 v7, v11, v7
	v_add_nc_u32_e32 v11, 0x1000, v0
	ds_write_b32 v0, v9 offset:2880
	ds_write_b32 v8, v7 offset:4320
	s_waitcnt lgkmcnt(0)
	s_barrier
	buffer_gl0_inv
	s_barrier
	buffer_gl0_inv
	ds_read2_b32 v[6:7], v6 offset0:40 offset1:220
	ds_read2_b32 v[8:9], v10 offset0:16 offset1:196
	;; [unrolled: 1-line block ×4, first 2 shown]
	ds_read2_b32 v[14:15], v0 offset1:180
	s_waitcnt lgkmcnt(0)
	s_barrier
	buffer_gl0_inv
	v_sub_f16_e32 v21, v6, v8
	v_sub_f16_e32 v24, v8, v6
	v_sub_f16_e32 v20, v12, v10
	v_sub_f16_e32 v23, v10, v12
	v_sub_f16_sdwa v30, v6, v8 dst_sel:DWORD dst_unused:UNUSED_PAD src0_sel:WORD_1 src1_sel:WORD_1
	v_sub_f16_sdwa v31, v12, v10 dst_sel:DWORD dst_unused:UNUSED_PAD src0_sel:WORD_1 src1_sel:WORD_1
	v_add_f16_e32 v34, v9, v11
	v_pk_add_f16 v42, v15, v7
	v_add_f16_sdwa v43, v9, v11 dst_sel:DWORD dst_unused:UNUSED_PAD src0_sel:WORD_1 src1_sel:WORD_1
	v_lshrrev_b32_e32 v44, 16, v15
	v_add_f16_sdwa v49, v7, v13 dst_sel:DWORD dst_unused:UNUSED_PAD src0_sel:WORD_1 src1_sel:WORD_1
	v_pk_add_f16 v25, v14, v6
	v_sub_f16_sdwa v35, v7, v13 dst_sel:DWORD dst_unused:UNUSED_PAD src0_sel:WORD_1 src1_sel:WORD_1
	v_sub_f16_sdwa v36, v9, v11 dst_sel:DWORD dst_unused:UNUSED_PAD src0_sel:WORD_1 src1_sel:WORD_1
	v_sub_f16_e32 v37, v13, v11
	v_sub_f16_e32 v38, v7, v9
	v_add_f16_e32 v39, v7, v13
	v_sub_f16_e32 v41, v9, v7
	v_sub_f16_e32 v45, v7, v13
	;; [unrolled: 1-line block ×3, first 2 shown]
	v_sub_f16_sdwa v47, v7, v9 dst_sel:DWORD dst_unused:UNUSED_PAD src0_sel:WORD_1 src1_sel:WORD_1
	v_sub_f16_sdwa v7, v9, v7 dst_sel:DWORD dst_unused:UNUSED_PAD src0_sel:WORD_1 src1_sel:WORD_1
	v_add_f16_e32 v20, v21, v20
	v_add_f16_e32 v21, v24, v23
	;; [unrolled: 1-line block ×3, first 2 shown]
	v_fma_f16 v24, -0.5, v34, v15
	v_pk_add_f16 v9, v42, v9
	v_fma_f16 v30, -0.5, v43, v44
	v_add_f16_e32 v17, v8, v10
	v_add_f16_e32 v22, v6, v12
	v_add_f16_sdwa v26, v8, v10 dst_sel:DWORD dst_unused:UNUSED_PAD src0_sel:WORD_1 src1_sel:WORD_1
	v_lshrrev_b32_e32 v27, 16, v14
	v_add_f16_sdwa v32, v6, v12 dst_sel:DWORD dst_unused:UNUSED_PAD src0_sel:WORD_1 src1_sel:WORD_1
	v_fmac_f16_e32 v44, -0.5, v49
	v_sub_f16_sdwa v18, v6, v12 dst_sel:DWORD dst_unused:UNUSED_PAD src0_sel:WORD_1 src1_sel:WORD_1
	v_sub_f16_sdwa v19, v8, v10 dst_sel:DWORD dst_unused:UNUSED_PAD src0_sel:WORD_1 src1_sel:WORD_1
	v_sub_f16_e32 v28, v6, v12
	v_sub_f16_e32 v29, v8, v10
	v_sub_f16_sdwa v6, v8, v6 dst_sel:DWORD dst_unused:UNUSED_PAD src0_sel:WORD_1 src1_sel:WORD_1
	v_sub_f16_e32 v40, v11, v13
	v_sub_f16_sdwa v48, v13, v11 dst_sel:DWORD dst_unused:UNUSED_PAD src0_sel:WORD_1 src1_sel:WORD_1
	v_sub_f16_sdwa v50, v11, v13 dst_sel:DWORD dst_unused:UNUSED_PAD src0_sel:WORD_1 src1_sel:WORD_1
	v_pk_add_f16 v8, v25, v8
	v_add_f16_e32 v25, v38, v37
	v_fmamk_f16 v37, v35, 0xbb9c, v24
	v_pk_add_f16 v9, v9, v11
	v_fmamk_f16 v11, v45, 0x3b9c, v30
	v_sub_f16_sdwa v33, v10, v12 dst_sel:DWORD dst_unused:UNUSED_PAD src0_sel:WORD_1 src1_sel:WORD_1
	v_fma_f16 v17, -0.5, v17, v14
	v_fma_f16 v14, -0.5, v22, v14
	;; [unrolled: 1-line block ×3, first 2 shown]
	v_fmac_f16_e32 v27, -0.5, v32
	v_fma_f16 v15, -0.5, v39, v15
	v_fmamk_f16 v39, v46, 0xbb9c, v44
	v_fmac_f16_e32 v44, 0x3b9c, v46
	v_fmac_f16_e32 v30, 0xbb9c, v45
	v_add_f16_e32 v31, v47, v48
	v_fmac_f16_e32 v37, 0xb8b4, v36
	v_fmac_f16_e32 v11, 0x38b4, v46
	v_add_f16_e32 v6, v6, v33
	v_add_f16_e32 v7, v7, v50
	v_fmamk_f16 v32, v18, 0xbb9c, v17
	v_fmac_f16_e32 v17, 0x3b9c, v18
	v_fmamk_f16 v33, v19, 0x3b9c, v14
	v_fmac_f16_e32 v14, 0xbb9c, v19
	v_pk_add_f16 v8, v8, v10
	v_fmamk_f16 v34, v29, 0xbb9c, v27
	v_fmac_f16_e32 v27, 0x3b9c, v29
	v_fmamk_f16 v38, v36, 0x3b9c, v15
	v_fmac_f16_e32 v15, 0xbb9c, v36
	v_fmac_f16_e32 v39, 0x38b4, v45
	;; [unrolled: 1-line block ×3, first 2 shown]
	v_fmamk_f16 v10, v28, 0x3b9c, v22
	v_fmac_f16_e32 v22, 0xbb9c, v28
	v_fmac_f16_e32 v24, 0x3b9c, v35
	;; [unrolled: 1-line block ×5, first 2 shown]
	v_add_f16_e32 v26, v41, v40
	v_fmac_f16_e32 v32, 0xb8b4, v19
	v_fmac_f16_e32 v17, 0x38b4, v19
	;; [unrolled: 1-line block ×4, first 2 shown]
	v_pk_add_f16 v8, v8, v12
	v_fmac_f16_e32 v34, 0x38b4, v28
	v_fmac_f16_e32 v27, 0xb8b4, v28
	;; [unrolled: 1-line block ×4, first 2 shown]
	v_pk_add_f16 v9, v9, v13
	v_fmac_f16_e32 v39, 0x34f2, v7
	v_fmac_f16_e32 v44, 0x34f2, v7
	;; [unrolled: 1-line block ×6, first 2 shown]
	v_mul_f16_e32 v7, 0xb8b4, v11
	v_mul_f16_e32 v19, 0x38b4, v37
	v_fmac_f16_e32 v32, 0x34f2, v20
	v_fmac_f16_e32 v17, 0x34f2, v20
	;; [unrolled: 1-line block ×8, first 2 shown]
	v_pk_add_f16 v6, v8, v9
	v_pk_add_f16 v9, v8, v9 neg_lo:[0,1] neg_hi:[0,1]
	v_mul_f16_e32 v8, 0xbb9c, v39
	v_mul_f16_e32 v13, 0xbb9c, v44
	;; [unrolled: 1-line block ×4, first 2 shown]
	v_fmac_f16_e32 v10, 0x34f2, v23
	v_fmac_f16_e32 v22, 0x34f2, v23
	;; [unrolled: 1-line block ×3, first 2 shown]
	v_mul_f16_e32 v18, 0xb8b4, v30
	v_mul_f16_e32 v23, 0xba79, v30
	v_fmac_f16_e32 v7, 0x3a79, v37
	v_fmac_f16_e32 v19, 0x3a79, v11
	;; [unrolled: 1-line block ×8, first 2 shown]
	v_add_f16_e32 v15, v32, v7
	v_add_f16_e32 v28, v10, v19
	;; [unrolled: 1-line block ×8, first 2 shown]
	v_sub_f16_e32 v7, v32, v7
	v_sub_f16_e32 v12, v33, v8
	;; [unrolled: 1-line block ×8, first 2 shown]
	v_pack_b32_f16 v10, v15, v28
	v_pack_b32_f16 v15, v25, v30
	;; [unrolled: 1-line block ×8, first 2 shown]
	ds_write2_b32 v16, v6, v10 offset1:1
	ds_write2_b32 v16, v19, v15 offset0:2 offset1:3
	ds_write2_b32 v16, v20, v9 offset0:4 offset1:5
	;; [unrolled: 1-line block ×4, first 2 shown]
	s_waitcnt lgkmcnt(0)
	s_barrier
	buffer_gl0_inv
	ds_read_b32 v10, v0
	ds_read_b32 v26, v0 offset:1200
	ds_read_b32 v23, v0 offset:2400
	;; [unrolled: 1-line block ×5, first 2 shown]
                                        ; implicit-def: $vgpr27
                                        ; implicit-def: $vgpr24
                                        ; implicit-def: $vgpr28
                                        ; implicit-def: $vgpr25
	s_and_saveexec_b32 s1, s0
	s_cbranch_execz .LBB0_21
; %bb.20:
	ds_read_b32 v7, v0 offset:720
	ds_read_b32 v25, v0 offset:5520
	;; [unrolled: 1-line block ×5, first 2 shown]
	ds_read_u16 v14, v0 offset:4322
	ds_read_b32 v13, v0 offset:4320
	s_waitcnt lgkmcnt(6)
	v_lshrrev_b32_e32 v8, 16, v7
	s_waitcnt lgkmcnt(5)
	v_lshrrev_b32_e32 v28, 16, v25
	;; [unrolled: 2-line block ×5, first 2 shown]
.LBB0_21:
	s_or_b32 exec_lo, exec_lo, s1
	v_and_b32_e32 v9, 0xff, v5
	v_add_nc_u32_e32 v16, 0xb4, v5
	v_mov_b32_e32 v15, 0xcccd
	v_mov_b32_e32 v30, 5
	s_waitcnt lgkmcnt(4)
	v_lshrrev_b32_e32 v44, 16, v26
	v_mul_lo_u16 v6, 0xcd, v9
	s_waitcnt lgkmcnt(3)
	v_lshrrev_b32_e32 v45, 16, v23
	s_waitcnt lgkmcnt(0)
	v_lshrrev_b32_e32 v48, 16, v19
	v_lshrrev_b32_e32 v46, 16, v22
	;; [unrolled: 1-line block ×3, first 2 shown]
	v_lshrrev_b16 v29, 11, v6
	v_mul_u32_u24_sdwa v6, v16, v15 dst_sel:DWORD dst_unused:UNUSED_PAD src0_sel:WORD_0 src1_sel:DWORD
	v_lshrrev_b32_e32 v43, 16, v10
	v_mul_lo_u16 v15, v29, 10
	v_lshrrev_b32_e32 v21, 19, v6
	v_sub_nc_u16 v31, v5, v15
	v_mul_lo_u16 v6, v21, 10
	v_mul_u32_u24_sdwa v32, v31, v30 dst_sel:DWORD dst_unused:UNUSED_PAD src0_sel:BYTE_0 src1_sel:DWORD
	v_sub_nc_u16 v15, v16, v6
	v_lshlrev_b32_e32 v6, 2, v32
	v_mul_u32_u24_sdwa v30, v15, v30 dst_sel:DWORD dst_unused:UNUSED_PAD src0_sel:WORD_0 src1_sel:DWORD
	global_load_dwordx4 v[33:36], v6, s[12:13]
	v_lshlrev_b32_e32 v30, 2, v30
	s_clause 0x2
	global_load_dword v41, v6, s[12:13] offset:16
	global_load_dwordx4 v[37:40], v30, s[12:13]
	global_load_dword v42, v30, s[12:13] offset:16
	v_mov_b32_e32 v30, 0xf0
	v_mov_b32_e32 v6, 2
	s_waitcnt vmcnt(0)
	s_barrier
	buffer_gl0_inv
	v_mul_u32_u24_sdwa v29, v29, v30 dst_sel:DWORD dst_unused:UNUSED_PAD src0_sel:WORD_0 src1_sel:DWORD
	v_lshlrev_b32_sdwa v30, v6, v31 dst_sel:DWORD dst_unused:UNUSED_PAD src0_sel:DWORD src1_sel:BYTE_0
	v_add3_u32 v49, 0, v29, v30
	v_mul_f16_sdwa v50, v33, v44 dst_sel:DWORD dst_unused:UNUSED_PAD src0_sel:WORD_1 src1_sel:DWORD
	v_mul_f16_sdwa v51, v33, v26 dst_sel:DWORD dst_unused:UNUSED_PAD src0_sel:WORD_1 src1_sel:DWORD
	;; [unrolled: 1-line block ×10, first 2 shown]
	v_mul_f16_sdwa v29, v17, v37 dst_sel:DWORD dst_unused:UNUSED_PAD src0_sel:DWORD src1_sel:WORD_1
	v_mul_f16_sdwa v60, v12, v37 dst_sel:DWORD dst_unused:UNUSED_PAD src0_sel:DWORD src1_sel:WORD_1
	;; [unrolled: 1-line block ×6, first 2 shown]
	v_fmac_f16_e32 v50, v33, v26
	v_mul_f16_sdwa v26, v27, v42 dst_sel:DWORD dst_unused:UNUSED_PAD src0_sel:DWORD src1_sel:WORD_1
	v_fma_f16 v33, v33, v44, -v51
	v_mul_f16_sdwa v44, v24, v42 dst_sel:DWORD dst_unused:UNUSED_PAD src0_sel:DWORD src1_sel:WORD_1
	v_fmac_f16_e32 v52, v34, v23
	v_fma_f16 v23, v34, v45, -v53
	v_fma_f16 v34, v35, v46, -v55
	v_fmac_f16_e32 v58, v41, v19
	v_fma_f16 v19, v41, v48, -v59
	v_mul_f16_sdwa v61, v11, v38 dst_sel:DWORD dst_unused:UNUSED_PAD src0_sel:DWORD src1_sel:WORD_1
	v_mul_f16_sdwa v63, v25, v40 dst_sel:DWORD dst_unused:UNUSED_PAD src0_sel:DWORD src1_sel:WORD_1
	v_fmac_f16_e32 v54, v35, v22
	v_fmac_f16_e32 v56, v36, v20
	v_fma_f16 v20, v36, v47, -v57
	v_fmac_f16_e32 v29, v12, v37
	v_fma_f16 v12, v17, v37, -v60
	v_fmac_f16_e32 v31, v11, v38
	v_fmac_f16_e32 v32, v13, v39
	v_fma_f16 v14, v14, v39, -v62
	v_fmac_f16_e32 v30, v25, v40
	v_fmac_f16_e32 v26, v24, v42
	v_fma_f16 v13, v27, v42, -v44
	v_sub_f16_e32 v36, v34, v19
	v_add_f16_e32 v37, v33, v34
	v_add_f16_e32 v34, v34, v19
	v_fma_f16 v22, v18, v38, -v61
	v_fma_f16 v11, v28, v40, -v63
	v_add_f16_e32 v17, v10, v52
	v_add_f16_e32 v18, v52, v56
	v_sub_f16_e32 v24, v23, v20
	v_add_f16_e32 v25, v43, v23
	v_add_f16_e32 v23, v23, v20
	v_add_f16_e32 v28, v50, v54
	v_add_f16_e32 v35, v54, v58
	v_sub_f16_e32 v38, v54, v58
	v_add_f16_e32 v39, v31, v30
	v_add_f16_e32 v44, v32, v26
	;; [unrolled: 1-line block ×3, first 2 shown]
	v_fmac_f16_e32 v33, -0.5, v34
	v_add_f16_e32 v41, v22, v11
	v_sub_f16_e32 v40, v22, v11
	v_sub_f16_e32 v45, v14, v13
	;; [unrolled: 1-line block ×3, first 2 shown]
	v_add_f16_e32 v17, v17, v56
	v_fmac_f16_e32 v10, -0.5, v18
	v_add_f16_e32 v18, v25, v20
	v_fmac_f16_e32 v43, -0.5, v23
	;; [unrolled: 2-line block ×3, first 2 shown]
	v_add_f16_e32 v19, v37, v19
	v_fma_f16 v23, -0.5, v39, v7
	v_fma_f16 v37, -0.5, v44, v29
	;; [unrolled: 1-line block ×3, first 2 shown]
	v_fmamk_f16 v28, v38, 0x3aee, v33
	v_sub_f16_e32 v27, v52, v56
	v_sub_f16_e32 v42, v31, v30
	v_fma_f16 v25, -0.5, v41, v8
	v_fmac_f16_e32 v33, 0xbaee, v38
	v_fmamk_f16 v39, v24, 0xbaee, v10
	v_fmac_f16_e32 v10, 0x3aee, v24
	v_fmamk_f16 v44, v36, 0xbaee, v50
	v_fmac_f16_e32 v50, 0x3aee, v36
	v_add_f16_e32 v36, v17, v20
	v_add_f16_e32 v38, v18, v19
	v_sub_f16_e32 v17, v17, v20
	v_sub_f16_e32 v18, v18, v19
	v_fmamk_f16 v24, v40, 0xbaee, v23
	v_fmac_f16_e32 v23, 0x3aee, v40
	v_fmamk_f16 v19, v45, 0xbaee, v37
	v_fmac_f16_e32 v37, 0x3aee, v45
	;; [unrolled: 2-line block ×3, first 2 shown]
	v_mul_f16_e32 v40, 0xbaee, v28
	v_mul_f16_e32 v45, 0.5, v28
	v_fmamk_f16 v41, v27, 0x3aee, v43
	v_fmac_f16_e32 v43, 0xbaee, v27
	v_fmamk_f16 v27, v42, 0x3aee, v25
	v_fmac_f16_e32 v25, 0xbaee, v42
	v_mul_f16_e32 v42, 0xbaee, v33
	v_mul_f16_e32 v46, -0.5, v33
	v_mul_f16_e32 v28, 0xbaee, v20
	v_mul_f16_e32 v33, 0xbaee, v35
	v_mul_f16_e32 v34, 0.5, v20
	v_mul_f16_e32 v35, -0.5, v35
	v_fmac_f16_e32 v40, 0.5, v44
	v_fmac_f16_e32 v45, 0x3aee, v44
	v_fmac_f16_e32 v42, -0.5, v50
	v_fmac_f16_e32 v46, 0x3aee, v50
	v_fmac_f16_e32 v28, 0.5, v19
	v_fmac_f16_e32 v33, -0.5, v37
	v_fmac_f16_e32 v34, 0x3aee, v19
	v_fmac_f16_e32 v35, 0x3aee, v37
	v_add_f16_e32 v20, v39, v40
	v_add_f16_e32 v44, v41, v45
	;; [unrolled: 1-line block ×4, first 2 shown]
	v_sub_f16_e32 v39, v39, v40
	v_sub_f16_e32 v10, v10, v42
	;; [unrolled: 1-line block ×4, first 2 shown]
	v_pack_b32_f16 v36, v36, v38
	v_pack_b32_f16 v38, v17, v18
	v_sub_f16_e32 v18, v24, v28
	v_sub_f16_e32 v17, v23, v33
	;; [unrolled: 1-line block ×3, first 2 shown]
	v_pack_b32_f16 v42, v20, v44
	v_sub_f16_e32 v20, v25, v35
	v_pack_b32_f16 v37, v37, v47
	v_pack_b32_f16 v39, v39, v40
	;; [unrolled: 1-line block ×3, first 2 shown]
	ds_write2_b32 v49, v36, v42 offset1:10
	ds_write2_b32 v49, v37, v38 offset0:20 offset1:30
	ds_write2_b32 v49, v39, v10 offset0:40 offset1:50
	s_and_saveexec_b32 s1, s0
	s_cbranch_execz .LBB0_23
; %bb.22:
	v_add_f16_e32 v8, v8, v22
	v_add_f16_e32 v10, v12, v14
	;; [unrolled: 1-line block ×7, first 2 shown]
	v_mul_lo_u16 v13, v21, 60
	v_add_f16_e32 v7, v7, v30
	v_add_f16_e32 v12, v12, v26
	;; [unrolled: 1-line block ×3, first 2 shown]
	v_sub_f16_e32 v14, v8, v10
	v_add_f16_e32 v8, v8, v10
	v_lshlrev_b32_sdwa v10, v6, v15 dst_sel:DWORD dst_unused:UNUSED_PAD src0_sel:DWORD src1_sel:WORD_0
	v_lshlrev_b32_sdwa v13, v6, v13 dst_sel:DWORD dst_unused:UNUSED_PAD src0_sel:DWORD src1_sel:WORD_0
	v_add_f16_e32 v15, v7, v12
	v_add_f16_e32 v11, v25, v35
	;; [unrolled: 1-line block ×3, first 2 shown]
	v_sub_f16_e32 v7, v7, v12
	v_add3_u32 v10, 0, v10, v13
	v_pack_b32_f16 v8, v15, v8
	v_pack_b32_f16 v12, v22, v21
	;; [unrolled: 1-line block ×4, first 2 shown]
	v_perm_b32 v13, v19, v18, 0x5040100
	v_perm_b32 v14, v20, v17, 0x5040100
	ds_write2_b32 v10, v8, v12 offset1:10
	ds_write2_b32 v10, v11, v7 offset0:20 offset1:30
	ds_write2_b32 v10, v13, v14 offset0:40 offset1:50
.LBB0_23:
	s_or_b32 exec_lo, exec_lo, s1
	v_mul_lo_u16 v7, 0x89, v9
	v_mov_b32_e32 v8, 9
	s_waitcnt lgkmcnt(0)
	s_barrier
	buffer_gl0_inv
	v_lshrrev_b16 v15, 13, v7
	v_add_nc_u32_e32 v22, 0x1600, v0
	v_add_nc_u32_e32 v23, 0x500, v0
	v_mov_b32_e32 v36, 0x960
	v_cmp_gt_u32_e64 s0, 60, v5
	v_mul_lo_u16 v7, v15, 60
	v_mul_u32_u24_sdwa v15, v15, v36 dst_sel:DWORD dst_unused:UNUSED_PAD src0_sel:WORD_0 src1_sel:DWORD
	v_sub_nc_u16 v34, v5, v7
	v_mul_u32_u24_sdwa v7, v34, v8 dst_sel:DWORD dst_unused:UNUSED_PAD src0_sel:BYTE_0 src1_sel:DWORD
	v_lshlrev_b32_sdwa v6, v6, v34 dst_sel:DWORD dst_unused:UNUSED_PAD src0_sel:DWORD src1_sel:BYTE_0
	v_lshlrev_b32_e32 v21, 2, v7
	v_add3_u32 v6, 0, v15, v6
	s_clause 0x2
	global_load_dwordx4 v[7:10], v21, s[12:13] offset:200
	global_load_dwordx4 v[11:14], v21, s[12:13] offset:216
	global_load_dword v35, v21, s[12:13] offset:232
	v_add_nc_u32_e32 v21, 0x1000, v0
	ds_read2_b32 v[24:25], v0 offset1:180
	v_add_nc_u32_e32 v44, 0x200, v6
	v_add_nc_u32_e32 v45, 0x400, v6
	;; [unrolled: 1-line block ×3, first 2 shown]
	ds_read2_b32 v[26:27], v21 offset0:56 offset1:236
	v_add_nc_u32_e32 v21, 0xb00, v0
	ds_read2_b32 v[28:29], v22 offset0:32 offset1:212
	ds_read2_b32 v[30:31], v23 offset0:40 offset1:220
	;; [unrolled: 1-line block ×3, first 2 shown]
	v_add_nc_u32_e32 v21, 0x580, v0
	v_add_nc_u32_e32 v22, 0x1200, v0
	v_add_nc_u32_e32 v23, 0xc00, v0
	s_waitcnt vmcnt(0) lgkmcnt(0)
	s_barrier
	buffer_gl0_inv
	v_lshrrev_b32_e32 v37, 16, v25
	v_lshrrev_b32_e32 v36, 16, v24
	;; [unrolled: 1-line block ×10, first 2 shown]
	v_mul_f16_sdwa v47, v7, v37 dst_sel:DWORD dst_unused:UNUSED_PAD src0_sel:WORD_1 src1_sel:DWORD
	v_mul_f16_sdwa v48, v7, v25 dst_sel:DWORD dst_unused:UNUSED_PAD src0_sel:WORD_1 src1_sel:DWORD
	;; [unrolled: 1-line block ×10, first 2 shown]
	v_mul_f16_sdwa v57, v34, v12 dst_sel:DWORD dst_unused:UNUSED_PAD src0_sel:DWORD src1_sel:WORD_1
	v_mul_f16_sdwa v58, v26, v12 dst_sel:DWORD dst_unused:UNUSED_PAD src0_sel:DWORD src1_sel:WORD_1
	;; [unrolled: 1-line block ×8, first 2 shown]
	v_fmac_f16_e32 v49, v8, v30
	v_fmac_f16_e32 v51, v9, v31
	v_fma_f16 v30, v7, v37, -v48
	v_fma_f16 v8, v8, v41, -v50
	v_fmac_f16_e32 v47, v7, v25
	v_fma_f16 v7, v9, v42, -v52
	v_fmac_f16_e32 v53, v10, v32
	;; [unrolled: 2-line block ×6, first 2 shown]
	v_fma_f16 v13, v39, v14, -v62
	v_fma_f16 v14, v40, v35, -v64
	v_fmac_f16_e32 v63, v29, v35
	v_add_f16_e32 v25, v53, v57
	v_add_f16_e32 v31, v49, v61
	v_sub_f16_e32 v39, v8, v9
	v_sub_f16_e32 v40, v13, v11
	v_add_f16_e32 v62, v30, v7
	v_add_f16_e32 v64, v10, v12
	;; [unrolled: 1-line block ×4, first 2 shown]
	v_sub_f16_e32 v28, v49, v53
	v_sub_f16_e32 v29, v61, v57
	;; [unrolled: 1-line block ×4, first 2 shown]
	v_add_f16_e32 v34, v36, v8
	v_add_f16_e32 v35, v9, v11
	v_sub_f16_e32 v37, v49, v61
	v_add_f16_e32 v41, v8, v13
	v_add_f16_e32 v43, v47, v51
	;; [unrolled: 1-line block ×3, first 2 shown]
	v_sub_f16_e32 v49, v7, v14
	v_sub_f16_e32 v50, v10, v12
	;; [unrolled: 1-line block ×3, first 2 shown]
	v_add_f16_e32 v56, v51, v63
	v_sub_f16_e32 v58, v55, v51
	v_sub_f16_e32 v51, v51, v63
	;; [unrolled: 1-line block ×4, first 2 shown]
	v_fma_f16 v25, -0.5, v25, v24
	v_fmac_f16_e32 v24, -0.5, v31
	v_add_f16_e32 v31, v39, v40
	v_add_f16_e32 v10, v62, v10
	v_fma_f16 v40, -0.5, v64, v30
	v_sub_f16_e32 v54, v63, v59
	v_sub_f16_e32 v65, v55, v59
	v_fmac_f16_e32 v30, -0.5, v68
	v_sub_f16_e32 v26, v8, v13
	v_sub_f16_e32 v27, v9, v11
	;; [unrolled: 1-line block ×6, first 2 shown]
	v_add_f16_e32 v28, v28, v29
	v_add_f16_e32 v29, v32, v33
	;; [unrolled: 1-line block ×3, first 2 shown]
	v_fma_f16 v32, -0.5, v35, v36
	v_fmac_f16_e32 v36, -0.5, v41
	v_fma_f16 v35, -0.5, v48, v47
	v_add_f16_e32 v10, v10, v12
	v_fmamk_f16 v12, v51, 0x3b9c, v40
	v_sub_f16_e32 v42, v11, v13
	v_add_f16_e32 v15, v15, v53
	v_add_f16_e32 v33, v43, v55
	;; [unrolled: 1-line block ×3, first 2 shown]
	v_fmac_f16_e32 v47, -0.5, v56
	v_fmamk_f16 v54, v65, 0xbb9c, v30
	v_fmac_f16_e32 v30, 0x3b9c, v65
	v_fmac_f16_e32 v40, 0xbb9c, v51
	v_add_f16_e32 v41, v66, v67
	v_add_f16_e32 v9, v9, v11
	v_fmamk_f16 v48, v38, 0xbb9c, v36
	v_fmac_f16_e32 v36, 0x3b9c, v38
	v_fmamk_f16 v52, v49, 0xbb9c, v35
	v_fmac_f16_e32 v12, 0x38b4, v65
	v_sub_f16_e32 v60, v59, v63
	v_add_f16_e32 v8, v8, v42
	v_add_f16_e32 v7, v7, v69
	v_add_f16_e32 v15, v15, v57
	v_fmamk_f16 v42, v26, 0xbb9c, v25
	v_fmac_f16_e32 v25, 0x3b9c, v26
	v_add_f16_e32 v33, v33, v59
	v_fmamk_f16 v53, v50, 0x3b9c, v47
	v_fmac_f16_e32 v47, 0xbb9c, v50
	v_fmac_f16_e32 v54, 0x38b4, v51
	v_fmac_f16_e32 v30, 0xb8b4, v51
	v_fmamk_f16 v43, v27, 0x3b9c, v24
	v_fmac_f16_e32 v24, 0xbb9c, v27
	v_fmac_f16_e32 v35, 0x3b9c, v49
	;; [unrolled: 1-line block ×3, first 2 shown]
	v_fmamk_f16 v11, v37, 0x3b9c, v32
	v_add_f16_e32 v9, v9, v13
	v_fmac_f16_e32 v48, 0x38b4, v37
	v_fmac_f16_e32 v36, 0xb8b4, v37
	;; [unrolled: 1-line block ×3, first 2 shown]
	v_add_f16_e32 v10, v10, v14
	v_fmac_f16_e32 v12, 0x34f2, v41
	v_add_f16_e32 v39, v58, v60
	v_add_f16_e32 v15, v15, v61
	v_fmac_f16_e32 v42, 0xb8b4, v27
	v_fmac_f16_e32 v25, 0x38b4, v27
	v_add_f16_e32 v13, v33, v63
	v_fmac_f16_e32 v53, 0xb8b4, v49
	v_fmac_f16_e32 v47, 0x38b4, v49
	;; [unrolled: 1-line block ×13, first 2 shown]
	v_add_f16_e32 v8, v9, v10
	v_sub_f16_e32 v9, v9, v10
	v_mul_f16_e32 v10, 0xb8b4, v12
	v_mul_f16_e32 v12, 0x3a79, v12
	v_fmac_f16_e32 v42, 0x34f2, v28
	v_fmac_f16_e32 v25, 0x34f2, v28
	;; [unrolled: 1-line block ×4, first 2 shown]
	v_add_f16_e32 v7, v15, v13
	v_sub_f16_e32 v13, v15, v13
	v_mul_f16_e32 v14, 0xbb9c, v54
	v_mul_f16_e32 v15, 0xbb9c, v30
	;; [unrolled: 1-line block ×4, first 2 shown]
	v_fmac_f16_e32 v32, 0xb8b4, v38
	v_fmac_f16_e32 v43, 0x34f2, v29
	v_fmac_f16_e32 v24, 0x34f2, v29
	v_fmac_f16_e32 v35, 0x34f2, v34
	v_mul_f16_e32 v26, 0xb8b4, v40
	v_mul_f16_e32 v29, 0xba79, v40
	v_fmac_f16_e32 v11, 0x34f2, v31
	v_fmac_f16_e32 v10, 0x3a79, v52
	v_fmac_f16_e32 v12, 0x38b4, v52
	v_fmac_f16_e32 v14, 0x34f2, v53
	v_fmac_f16_e32 v15, 0xb4f2, v47
	v_fmac_f16_e32 v27, 0x3b9c, v53
	v_fmac_f16_e32 v28, 0x3b9c, v47
	v_fmac_f16_e32 v32, 0x34f2, v31
	v_fmac_f16_e32 v26, 0xba79, v35
	v_fmac_f16_e32 v29, 0x38b4, v35
	v_pack_b32_f16 v7, v7, v8
	v_pack_b32_f16 v8, v13, v9
	v_add_f16_e32 v9, v42, v10
	v_add_f16_e32 v33, v11, v12
	;; [unrolled: 1-line block ×8, first 2 shown]
	v_sub_f16_e32 v10, v42, v10
	v_sub_f16_e32 v14, v43, v14
	v_sub_f16_e32 v11, v11, v12
	v_sub_f16_e32 v12, v48, v27
	v_sub_f16_e32 v15, v24, v15
	v_sub_f16_e32 v24, v25, v26
	v_sub_f16_e32 v26, v36, v28
	v_sub_f16_e32 v25, v32, v29
	v_pack_b32_f16 v9, v9, v33
	v_pack_b32_f16 v13, v13, v34
	;; [unrolled: 1-line block ×8, first 2 shown]
	ds_write2_b32 v6, v7, v9 offset1:60
	ds_write2_b32 v6, v13, v27 offset0:120 offset1:180
	ds_write2_b32 v44, v28, v8 offset0:112 offset1:172
	;; [unrolled: 1-line block ×4, first 2 shown]
	s_waitcnt lgkmcnt(0)
	s_barrier
	buffer_gl0_inv
	ds_read2_b32 v[8:9], v0 offset1:180
	ds_read2_b32 v[6:7], v21 offset0:8 offset1:248
	ds_read2_b32 v[14:15], v22 offset0:48 offset1:228
	ds_read2_b32 v[12:13], v23 offset0:12 offset1:192
	ds_read_b32 v26, v0 offset:6240
	s_and_saveexec_b32 s1, s0
	s_cbranch_execz .LBB0_25
; %bb.24:
	ds_read_b32 v24, v0 offset:2160
	ds_read_b32 v17, v0 offset:6960
	;; [unrolled: 1-line block ×3, first 2 shown]
	s_waitcnt lgkmcnt(2)
	v_lshrrev_b32_e32 v25, 16, v24
	s_waitcnt lgkmcnt(1)
	v_lshrrev_b32_e32 v20, 16, v17
	;; [unrolled: 2-line block ×3, first 2 shown]
.LBB0_25:
	s_or_b32 exec_lo, exec_lo, s1
	v_mov_b32_e32 v11, 0
	v_lshlrev_b32_e32 v10, 1, v5
	v_lshlrev_b32_e32 v27, 1, v16
	s_waitcnt lgkmcnt(3)
	v_lshrrev_b32_e32 v37, 16, v7
	s_waitcnt lgkmcnt(2)
	v_lshrrev_b32_e32 v39, 16, v14
	v_mov_b32_e32 v28, v11
	v_lshlrev_b64 v[29:30], 2, v[10:11]
	v_add_nc_u32_e32 v10, 0x2d0, v10
	s_waitcnt lgkmcnt(1)
	v_lshrrev_b32_e32 v35, 16, v13
	v_lshrrev_b32_e32 v36, 16, v15
	v_lshlrev_b64 v[27:28], 2, v[27:28]
	v_lshrrev_b32_e32 v38, 16, v12
	v_add_co_u32 v16, s1, s12, v29
	v_add_co_ci_u32_e64 v32, s1, s13, v30, s1
	v_lshlrev_b64 v[29:30], 2, v[10:11]
	v_add_co_u32 v31, s1, 0x800, v16
	v_add_co_ci_u32_e64 v32, s1, 0, v32, s1
	v_add_co_u32 v10, s1, s12, v27
	v_add_co_ci_u32_e64 v16, s1, s13, v28, s1
	global_load_dwordx2 v[27:28], v[31:32], off offset:312
	v_add_co_u32 v31, s1, s12, v29
	v_add_co_ci_u32_e64 v32, s1, s13, v30, s1
	v_add_co_u32 v29, s1, 0x800, v10
	v_add_co_ci_u32_e64 v30, s1, 0, v16, s1
	;; [unrolled: 2-line block ×3, first 2 shown]
	s_clause 0x1
	global_load_dwordx2 v[29:30], v[29:30], off offset:312
	global_load_dwordx2 v[31:32], v[31:32], off offset:312
	s_waitcnt lgkmcnt(0)
	v_lshrrev_b32_e32 v34, 16, v26
	v_lshrrev_b32_e32 v10, 16, v8
	;; [unrolled: 1-line block ×4, first 2 shown]
	s_waitcnt vmcnt(0)
	s_barrier
	buffer_gl0_inv
	v_mul_f16_sdwa v40, v27, v37 dst_sel:DWORD dst_unused:UNUSED_PAD src0_sel:WORD_1 src1_sel:DWORD
	v_mul_f16_sdwa v41, v27, v7 dst_sel:DWORD dst_unused:UNUSED_PAD src0_sel:WORD_1 src1_sel:DWORD
	;; [unrolled: 1-line block ×4, first 2 shown]
	v_fmac_f16_e32 v40, v27, v7
	v_fma_f16 v7, v27, v37, -v41
	v_fmac_f16_e32 v42, v28, v14
	v_fma_f16 v14, v28, v39, -v43
	v_mul_f16_sdwa v27, v29, v38 dst_sel:DWORD dst_unused:UNUSED_PAD src0_sel:WORD_1 src1_sel:DWORD
	v_mul_f16_sdwa v28, v29, v12 dst_sel:DWORD dst_unused:UNUSED_PAD src0_sel:WORD_1 src1_sel:DWORD
	;; [unrolled: 1-line block ×8, first 2 shown]
	v_fmac_f16_e32 v27, v29, v12
	v_fma_f16 v12, v29, v38, -v28
	v_fmac_f16_e32 v37, v30, v15
	v_fma_f16 v15, v30, v36, -v39
	;; [unrolled: 2-line block ×3, first 2 shown]
	v_add_f16_e32 v29, v40, v42
	v_add_f16_e32 v31, v10, v7
	v_fmac_f16_e32 v44, v32, v26
	v_fma_f16 v26, v32, v34, -v45
	v_sub_f16_e32 v30, v7, v14
	v_add_f16_e32 v7, v7, v14
	v_add_f16_e32 v28, v8, v40
	v_fma_f16 v8, -0.5, v29, v8
	v_add_f16_e32 v14, v31, v14
	v_add_f16_e32 v29, v27, v37
	v_sub_f16_e32 v31, v12, v15
	v_add_f16_e32 v34, v16, v12
	v_add_f16_e32 v12, v12, v15
	;; [unrolled: 1-line block ×3, first 2 shown]
	v_sub_f16_e32 v38, v13, v26
	v_add_f16_e32 v39, v33, v13
	v_add_f16_e32 v13, v13, v26
	v_fmac_f16_e32 v10, -0.5, v7
	v_add_f16_e32 v7, v9, v27
	v_sub_f16_e32 v32, v40, v42
	v_add_f16_e32 v35, v6, v41
	v_add_f16_e32 v28, v28, v42
	v_sub_f16_e32 v27, v27, v37
	v_fmac_f16_e32 v9, -0.5, v29
	v_fmac_f16_e32 v16, -0.5, v12
	v_sub_f16_e32 v40, v41, v44
	v_fmac_f16_e32 v6, -0.5, v36
	v_fmac_f16_e32 v33, -0.5, v13
	v_add_f16_e32 v7, v7, v37
	v_add_f16_e32 v15, v34, v15
	v_fmamk_f16 v41, v30, 0xbaee, v8
	v_fmac_f16_e32 v8, 0x3aee, v30
	v_fmamk_f16 v30, v32, 0x3aee, v10
	v_fmac_f16_e32 v10, 0xbaee, v32
	v_add_f16_e32 v12, v35, v44
	v_add_f16_e32 v26, v39, v26
	v_pack_b32_f16 v13, v28, v14
	v_fmamk_f16 v14, v31, 0xbaee, v9
	v_fmac_f16_e32 v9, 0x3aee, v31
	v_fmamk_f16 v28, v27, 0x3aee, v16
	v_fmac_f16_e32 v16, 0xbaee, v27
	v_fmamk_f16 v27, v38, 0xbaee, v6
	v_fmamk_f16 v29, v40, 0x3aee, v33
	v_fmac_f16_e32 v6, 0x3aee, v38
	v_fmac_f16_e32 v33, 0xbaee, v40
	v_pack_b32_f16 v7, v7, v15
	v_pack_b32_f16 v30, v41, v30
	;; [unrolled: 1-line block ×8, first 2 shown]
	ds_write2_b32 v0, v13, v7 offset1:180
	ds_write2_b32 v21, v10, v30 offset0:8 offset1:248
	ds_write2_b32 v22, v8, v9 offset0:48 offset1:228
	;; [unrolled: 1-line block ×3, first 2 shown]
	ds_write_b32 v0, v6 offset:6240
	s_and_saveexec_b32 s1, s0
	s_cbranch_execz .LBB0_27
; %bb.26:
	v_mov_b32_e32 v6, 0x21c
	v_cndmask_b32_e64 v6, 0xffffffc4, v6, s0
	v_add_lshl_u32 v10, v5, v6, 1
	v_lshlrev_b64 v[6:7], 2, v[10:11]
	v_add_co_u32 v6, s0, s12, v6
	v_add_co_ci_u32_e64 v7, s0, s13, v7, s0
	v_add_co_u32 v6, s0, 0x800, v6
	v_add_co_ci_u32_e64 v7, s0, 0, v7, s0
	global_load_dwordx2 v[6:7], v[6:7], off offset:312
	s_waitcnt vmcnt(0)
	v_mul_f16_sdwa v8, v18, v6 dst_sel:DWORD dst_unused:UNUSED_PAD src0_sel:DWORD src1_sel:WORD_1
	v_mul_f16_sdwa v9, v17, v7 dst_sel:DWORD dst_unused:UNUSED_PAD src0_sel:DWORD src1_sel:WORD_1
	;; [unrolled: 1-line block ×4, first 2 shown]
	v_fma_f16 v8, v19, v6, -v8
	v_fma_f16 v9, v20, v7, -v9
	v_fmac_f16_e32 v10, v18, v6
	v_fmac_f16_e32 v11, v17, v7
	v_add_f16_e32 v13, v25, v8
	v_add_f16_e32 v6, v8, v9
	v_sub_f16_e32 v8, v8, v9
	v_add_f16_e32 v12, v10, v11
	v_sub_f16_e32 v7, v10, v11
	v_add_f16_e32 v10, v24, v10
	v_fma_f16 v6, -0.5, v6, v25
	v_add_f16_e32 v9, v13, v9
	v_fma_f16 v12, -0.5, v12, v24
	v_add_f16_e32 v10, v10, v11
	v_fmamk_f16 v11, v7, 0xbaee, v6
	v_fmac_f16_e32 v6, 0x3aee, v7
	v_fmamk_f16 v7, v8, 0x3aee, v12
	v_fmac_f16_e32 v12, 0xbaee, v8
	v_pack_b32_f16 v8, v10, v9
	v_pack_b32_f16 v7, v7, v11
	;; [unrolled: 1-line block ×3, first 2 shown]
	ds_write_b32 v0, v8 offset:2160
	ds_write_b32 v0, v6 offset:4560
	;; [unrolled: 1-line block ×3, first 2 shown]
.LBB0_27:
	s_or_b32 exec_lo, exec_lo, s1
	s_waitcnt lgkmcnt(0)
	s_barrier
	buffer_gl0_inv
	s_and_saveexec_b32 s0, vcc_lo
	s_cbranch_execz .LBB0_29
; %bb.28:
	v_mul_lo_u32 v0, s3, v3
	v_mul_lo_u32 v6, s2, v4
	v_mad_u64_u32 v[3:4], null, s2, v3, 0
	v_lshl_add_u32 v19, v5, 2, 0
	v_add_nc_u32_e32 v7, 0xb4, v5
	v_add_nc_u32_e32 v9, 0x168, v5
	;; [unrolled: 1-line block ×4, first 2 shown]
	ds_read2_b32 v[11:12], v19 offset1:180
	v_add3_u32 v4, v4, v6, v0
	v_lshlrev_b64 v[0:1], 2, v[1:2]
	v_mov_b32_e32 v6, 0
	v_lshlrev_b64 v[2:3], 2, v[3:4]
	v_mov_b32_e32 v10, v6
	v_mov_b32_e32 v14, v6
	v_mov_b32_e32 v18, v6
	v_add_co_u32 v4, vcc_lo, s10, v2
	v_add_co_ci_u32_e32 v8, vcc_lo, s11, v3, vcc_lo
	v_lshlrev_b64 v[2:3], 2, v[5:6]
	v_add_co_u32 v20, vcc_lo, v4, v0
	v_add_co_ci_u32_e32 v21, vcc_lo, v8, v1, vcc_lo
	v_mov_b32_e32 v8, v6
	v_add_co_u32 v0, vcc_lo, v20, v2
	v_add_co_ci_u32_e32 v1, vcc_lo, v21, v3, vcc_lo
	v_lshlrev_b64 v[2:3], 2, v[7:8]
	v_add_nc_u32_e32 v4, 0x500, v19
	v_lshlrev_b64 v[7:8], 2, v[9:10]
	s_waitcnt lgkmcnt(0)
	global_store_dword v[0:1], v11, off
	v_add_nc_u32_e32 v11, 0xb00, v19
	v_lshlrev_b64 v[9:10], 2, v[13:14]
	v_add_co_u32 v0, vcc_lo, v20, v2
	v_add_co_ci_u32_e32 v1, vcc_lo, v21, v3, vcc_lo
	ds_read2_b32 v[2:3], v4 offset0:40 offset1:220
	ds_read2_b32 v[15:16], v11 offset0:16 offset1:196
	v_add_nc_u32_e32 v13, 0x2d0, v5
	v_add_co_u32 v7, vcc_lo, v20, v7
	v_add_co_ci_u32_e32 v8, vcc_lo, v21, v8, vcc_lo
	v_lshlrev_b64 v[13:14], 2, v[13:14]
	v_add_co_u32 v9, vcc_lo, v20, v9
	v_add_co_ci_u32_e32 v10, vcc_lo, v21, v10, vcc_lo
	v_add_nc_u32_e32 v4, 0x1000, v19
	v_add_co_u32 v13, vcc_lo, v20, v13
	v_add_co_ci_u32_e32 v14, vcc_lo, v21, v14, vcc_lo
	global_store_dword v[0:1], v12, off
	s_waitcnt lgkmcnt(1)
	global_store_dword v[7:8], v2, off
	global_store_dword v[9:10], v3, off
	s_waitcnt lgkmcnt(0)
	global_store_dword v[13:14], v15, off
	v_add_nc_u32_e32 v2, 0x438, v5
	v_mov_b32_e32 v3, v6
	ds_read2_b32 v[9:10], v4 offset0:56 offset1:236
	v_add_nc_u32_e32 v4, 0x1600, v19
	v_lshlrev_b64 v[0:1], 2, v[17:18]
	v_add_nc_u32_e32 v7, 0x4ec, v5
	v_mov_b32_e32 v8, v6
	v_lshlrev_b64 v[2:3], 2, v[2:3]
	v_add_nc_u32_e32 v11, 0x5a0, v5
	v_mov_b32_e32 v12, v6
	ds_read2_b32 v[13:14], v4 offset0:32 offset1:212
	v_add_co_u32 v0, vcc_lo, v20, v0
	v_lshlrev_b64 v[7:8], 2, v[7:8]
	v_add_nc_u32_e32 v5, 0x654, v5
	v_add_co_ci_u32_e32 v1, vcc_lo, v21, v1, vcc_lo
	v_add_co_u32 v2, vcc_lo, v20, v2
	v_lshlrev_b64 v[11:12], 2, v[11:12]
	v_add_co_ci_u32_e32 v3, vcc_lo, v21, v3, vcc_lo
	v_add_co_u32 v7, vcc_lo, v20, v7
	v_lshlrev_b64 v[4:5], 2, v[5:6]
	v_add_co_ci_u32_e32 v8, vcc_lo, v21, v8, vcc_lo
	v_add_co_u32 v11, vcc_lo, v20, v11
	v_add_co_ci_u32_e32 v12, vcc_lo, v21, v12, vcc_lo
	v_add_co_u32 v4, vcc_lo, v20, v4
	v_add_co_ci_u32_e32 v5, vcc_lo, v21, v5, vcc_lo
	global_store_dword v[0:1], v16, off
	s_waitcnt lgkmcnt(1)
	global_store_dword v[2:3], v9, off
	global_store_dword v[7:8], v10, off
	s_waitcnt lgkmcnt(0)
	global_store_dword v[11:12], v13, off
	global_store_dword v[4:5], v14, off
.LBB0_29:
	s_endpgm
	.section	.rodata,"a",@progbits
	.p2align	6, 0x0
	.amdhsa_kernel fft_rtc_back_len1800_factors_10_6_10_3_wgs_180_tpt_180_halfLds_half_op_CI_CI_unitstride_sbrr_C2R_dirReg
		.amdhsa_group_segment_fixed_size 0
		.amdhsa_private_segment_fixed_size 0
		.amdhsa_kernarg_size 104
		.amdhsa_user_sgpr_count 6
		.amdhsa_user_sgpr_private_segment_buffer 1
		.amdhsa_user_sgpr_dispatch_ptr 0
		.amdhsa_user_sgpr_queue_ptr 0
		.amdhsa_user_sgpr_kernarg_segment_ptr 1
		.amdhsa_user_sgpr_dispatch_id 0
		.amdhsa_user_sgpr_flat_scratch_init 0
		.amdhsa_user_sgpr_private_segment_size 0
		.amdhsa_wavefront_size32 1
		.amdhsa_uses_dynamic_stack 0
		.amdhsa_system_sgpr_private_segment_wavefront_offset 0
		.amdhsa_system_sgpr_workgroup_id_x 1
		.amdhsa_system_sgpr_workgroup_id_y 0
		.amdhsa_system_sgpr_workgroup_id_z 0
		.amdhsa_system_sgpr_workgroup_info 0
		.amdhsa_system_vgpr_workitem_id 0
		.amdhsa_next_free_vgpr 70
		.amdhsa_next_free_sgpr 27
		.amdhsa_reserve_vcc 1
		.amdhsa_reserve_flat_scratch 0
		.amdhsa_float_round_mode_32 0
		.amdhsa_float_round_mode_16_64 0
		.amdhsa_float_denorm_mode_32 3
		.amdhsa_float_denorm_mode_16_64 3
		.amdhsa_dx10_clamp 1
		.amdhsa_ieee_mode 1
		.amdhsa_fp16_overflow 0
		.amdhsa_workgroup_processor_mode 1
		.amdhsa_memory_ordered 1
		.amdhsa_forward_progress 0
		.amdhsa_shared_vgpr_count 0
		.amdhsa_exception_fp_ieee_invalid_op 0
		.amdhsa_exception_fp_denorm_src 0
		.amdhsa_exception_fp_ieee_div_zero 0
		.amdhsa_exception_fp_ieee_overflow 0
		.amdhsa_exception_fp_ieee_underflow 0
		.amdhsa_exception_fp_ieee_inexact 0
		.amdhsa_exception_int_div_zero 0
	.end_amdhsa_kernel
	.text
.Lfunc_end0:
	.size	fft_rtc_back_len1800_factors_10_6_10_3_wgs_180_tpt_180_halfLds_half_op_CI_CI_unitstride_sbrr_C2R_dirReg, .Lfunc_end0-fft_rtc_back_len1800_factors_10_6_10_3_wgs_180_tpt_180_halfLds_half_op_CI_CI_unitstride_sbrr_C2R_dirReg
                                        ; -- End function
	.section	.AMDGPU.csdata,"",@progbits
; Kernel info:
; codeLenInByte = 8440
; NumSgprs: 29
; NumVgprs: 70
; ScratchSize: 0
; MemoryBound: 0
; FloatMode: 240
; IeeeMode: 1
; LDSByteSize: 0 bytes/workgroup (compile time only)
; SGPRBlocks: 3
; VGPRBlocks: 8
; NumSGPRsForWavesPerEU: 29
; NumVGPRsForWavesPerEU: 70
; Occupancy: 12
; WaveLimiterHint : 1
; COMPUTE_PGM_RSRC2:SCRATCH_EN: 0
; COMPUTE_PGM_RSRC2:USER_SGPR: 6
; COMPUTE_PGM_RSRC2:TRAP_HANDLER: 0
; COMPUTE_PGM_RSRC2:TGID_X_EN: 1
; COMPUTE_PGM_RSRC2:TGID_Y_EN: 0
; COMPUTE_PGM_RSRC2:TGID_Z_EN: 0
; COMPUTE_PGM_RSRC2:TIDIG_COMP_CNT: 0
	.text
	.p2alignl 6, 3214868480
	.fill 48, 4, 3214868480
	.type	__hip_cuid_b02049cb2841117c,@object ; @__hip_cuid_b02049cb2841117c
	.section	.bss,"aw",@nobits
	.globl	__hip_cuid_b02049cb2841117c
__hip_cuid_b02049cb2841117c:
	.byte	0                               ; 0x0
	.size	__hip_cuid_b02049cb2841117c, 1

	.ident	"AMD clang version 19.0.0git (https://github.com/RadeonOpenCompute/llvm-project roc-6.4.0 25133 c7fe45cf4b819c5991fe208aaa96edf142730f1d)"
	.section	".note.GNU-stack","",@progbits
	.addrsig
	.addrsig_sym __hip_cuid_b02049cb2841117c
	.amdgpu_metadata
---
amdhsa.kernels:
  - .args:
      - .actual_access:  read_only
        .address_space:  global
        .offset:         0
        .size:           8
        .value_kind:     global_buffer
      - .offset:         8
        .size:           8
        .value_kind:     by_value
      - .actual_access:  read_only
        .address_space:  global
        .offset:         16
        .size:           8
        .value_kind:     global_buffer
      - .actual_access:  read_only
        .address_space:  global
        .offset:         24
        .size:           8
        .value_kind:     global_buffer
      - .actual_access:  read_only
        .address_space:  global
        .offset:         32
        .size:           8
        .value_kind:     global_buffer
      - .offset:         40
        .size:           8
        .value_kind:     by_value
      - .actual_access:  read_only
        .address_space:  global
        .offset:         48
        .size:           8
        .value_kind:     global_buffer
      - .actual_access:  read_only
        .address_space:  global
        .offset:         56
        .size:           8
        .value_kind:     global_buffer
      - .offset:         64
        .size:           4
        .value_kind:     by_value
      - .actual_access:  read_only
        .address_space:  global
        .offset:         72
        .size:           8
        .value_kind:     global_buffer
      - .actual_access:  read_only
        .address_space:  global
        .offset:         80
        .size:           8
        .value_kind:     global_buffer
      - .actual_access:  read_only
        .address_space:  global
        .offset:         88
        .size:           8
        .value_kind:     global_buffer
      - .actual_access:  write_only
        .address_space:  global
        .offset:         96
        .size:           8
        .value_kind:     global_buffer
    .group_segment_fixed_size: 0
    .kernarg_segment_align: 8
    .kernarg_segment_size: 104
    .language:       OpenCL C
    .language_version:
      - 2
      - 0
    .max_flat_workgroup_size: 180
    .name:           fft_rtc_back_len1800_factors_10_6_10_3_wgs_180_tpt_180_halfLds_half_op_CI_CI_unitstride_sbrr_C2R_dirReg
    .private_segment_fixed_size: 0
    .sgpr_count:     29
    .sgpr_spill_count: 0
    .symbol:         fft_rtc_back_len1800_factors_10_6_10_3_wgs_180_tpt_180_halfLds_half_op_CI_CI_unitstride_sbrr_C2R_dirReg.kd
    .uniform_work_group_size: 1
    .uses_dynamic_stack: false
    .vgpr_count:     70
    .vgpr_spill_count: 0
    .wavefront_size: 32
    .workgroup_processor_mode: 1
amdhsa.target:   amdgcn-amd-amdhsa--gfx1030
amdhsa.version:
  - 1
  - 2
...

	.end_amdgpu_metadata
